;; amdgpu-corpus repo=ROCm/rocFFT kind=compiled arch=gfx1201 opt=O3
	.text
	.amdgcn_target "amdgcn-amd-amdhsa--gfx1201"
	.amdhsa_code_object_version 6
	.protected	fft_rtc_fwd_len440_factors_11_8_5_wgs_55_tpt_55_half_op_CI_CI_sbrr_dirReg ; -- Begin function fft_rtc_fwd_len440_factors_11_8_5_wgs_55_tpt_55_half_op_CI_CI_sbrr_dirReg
	.globl	fft_rtc_fwd_len440_factors_11_8_5_wgs_55_tpt_55_half_op_CI_CI_sbrr_dirReg
	.p2align	8
	.type	fft_rtc_fwd_len440_factors_11_8_5_wgs_55_tpt_55_half_op_CI_CI_sbrr_dirReg,@function
fft_rtc_fwd_len440_factors_11_8_5_wgs_55_tpt_55_half_op_CI_CI_sbrr_dirReg: ; @fft_rtc_fwd_len440_factors_11_8_5_wgs_55_tpt_55_half_op_CI_CI_sbrr_dirReg
; %bb.0:
	s_clause 0x2
	s_load_b128 s[12:15], s[0:1], 0x18
	s_load_b128 s[8:11], s[0:1], 0x0
	;; [unrolled: 1-line block ×3, first 2 shown]
	v_mul_u32_u24_e32 v1, 0x4a8, v0
	v_mov_b32_e32 v7, 0
	v_mov_b32_e32 v5, 0
	;; [unrolled: 1-line block ×3, first 2 shown]
	s_wait_kmcnt 0x0
	s_load_b64 s[18:19], s[12:13], 0x0
	s_load_b64 s[16:17], s[14:15], 0x0
	v_lshrrev_b32_e32 v1, 16, v1
	v_cmp_lt_u64_e64 s2, s[10:11], 2
	s_delay_alu instid0(VALU_DEP_2) | instskip(NEXT) | instid1(VALU_DEP_2)
	v_dual_mov_b32 v10, v7 :: v_dual_add_nc_u32 v9, ttmp9, v1
	s_and_b32 vcc_lo, exec_lo, s2
	s_cbranch_vccnz .LBB0_8
; %bb.1:
	s_load_b64 s[2:3], s[0:1], 0x10
	v_mov_b32_e32 v5, 0
	v_mov_b32_e32 v6, 0
	s_delay_alu instid0(VALU_DEP_2)
	v_mov_b32_e32 v1, v5
	s_add_nc_u64 s[20:21], s[14:15], 8
	s_add_nc_u64 s[22:23], s[12:13], 8
	s_mov_b64 s[24:25], 1
	v_mov_b32_e32 v2, v6
	s_wait_kmcnt 0x0
	s_add_nc_u64 s[26:27], s[2:3], 8
	s_mov_b32 s3, 0
.LBB0_2:                                ; =>This Inner Loop Header: Depth=1
	s_load_b64 s[28:29], s[26:27], 0x0
                                        ; implicit-def: $vgpr3_vgpr4
	s_mov_b32 s2, exec_lo
	s_wait_kmcnt 0x0
	v_or_b32_e32 v8, s29, v10
	s_delay_alu instid0(VALU_DEP_1)
	v_cmpx_ne_u64_e32 0, v[7:8]
	s_wait_alu 0xfffe
	s_xor_b32 s30, exec_lo, s2
	s_cbranch_execz .LBB0_4
; %bb.3:                                ;   in Loop: Header=BB0_2 Depth=1
	s_cvt_f32_u32 s2, s28
	s_cvt_f32_u32 s31, s29
	s_sub_nc_u64 s[36:37], 0, s[28:29]
	s_wait_alu 0xfffe
	s_delay_alu instid0(SALU_CYCLE_1) | instskip(SKIP_1) | instid1(SALU_CYCLE_2)
	s_fmamk_f32 s2, s31, 0x4f800000, s2
	s_wait_alu 0xfffe
	v_s_rcp_f32 s2, s2
	s_delay_alu instid0(TRANS32_DEP_1) | instskip(SKIP_1) | instid1(SALU_CYCLE_2)
	s_mul_f32 s2, s2, 0x5f7ffffc
	s_wait_alu 0xfffe
	s_mul_f32 s31, s2, 0x2f800000
	s_wait_alu 0xfffe
	s_delay_alu instid0(SALU_CYCLE_2) | instskip(SKIP_1) | instid1(SALU_CYCLE_2)
	s_trunc_f32 s31, s31
	s_wait_alu 0xfffe
	s_fmamk_f32 s2, s31, 0xcf800000, s2
	s_cvt_u32_f32 s35, s31
	s_wait_alu 0xfffe
	s_delay_alu instid0(SALU_CYCLE_1) | instskip(SKIP_1) | instid1(SALU_CYCLE_2)
	s_cvt_u32_f32 s34, s2
	s_wait_alu 0xfffe
	s_mul_u64 s[38:39], s[36:37], s[34:35]
	s_wait_alu 0xfffe
	s_mul_hi_u32 s41, s34, s39
	s_mul_i32 s40, s34, s39
	s_mul_hi_u32 s2, s34, s38
	s_mul_i32 s33, s35, s38
	s_wait_alu 0xfffe
	s_add_nc_u64 s[40:41], s[2:3], s[40:41]
	s_mul_hi_u32 s31, s35, s38
	s_mul_hi_u32 s42, s35, s39
	s_add_co_u32 s2, s40, s33
	s_wait_alu 0xfffe
	s_add_co_ci_u32 s2, s41, s31
	s_mul_i32 s38, s35, s39
	s_add_co_ci_u32 s39, s42, 0
	s_wait_alu 0xfffe
	s_add_nc_u64 s[38:39], s[2:3], s[38:39]
	s_wait_alu 0xfffe
	v_add_co_u32 v3, s2, s34, s38
	s_delay_alu instid0(VALU_DEP_1) | instskip(SKIP_1) | instid1(VALU_DEP_1)
	s_cmp_lg_u32 s2, 0
	s_add_co_ci_u32 s35, s35, s39
	v_readfirstlane_b32 s34, v3
	s_wait_alu 0xfffe
	s_delay_alu instid0(VALU_DEP_1)
	s_mul_u64 s[36:37], s[36:37], s[34:35]
	s_wait_alu 0xfffe
	s_mul_hi_u32 s39, s34, s37
	s_mul_i32 s38, s34, s37
	s_mul_hi_u32 s2, s34, s36
	s_mul_i32 s33, s35, s36
	s_wait_alu 0xfffe
	s_add_nc_u64 s[38:39], s[2:3], s[38:39]
	s_mul_hi_u32 s31, s35, s36
	s_mul_hi_u32 s34, s35, s37
	s_wait_alu 0xfffe
	s_add_co_u32 s2, s38, s33
	s_add_co_ci_u32 s2, s39, s31
	s_mul_i32 s36, s35, s37
	s_add_co_ci_u32 s37, s34, 0
	s_wait_alu 0xfffe
	s_add_nc_u64 s[36:37], s[2:3], s[36:37]
	s_wait_alu 0xfffe
	v_add_co_u32 v8, s2, v3, s36
	s_delay_alu instid0(VALU_DEP_1) | instskip(SKIP_1) | instid1(VALU_DEP_1)
	s_cmp_lg_u32 s2, 0
	s_add_co_ci_u32 s2, s35, s37
	v_mul_hi_u32 v15, v9, v8
	s_wait_alu 0xfffe
	v_mad_co_u64_u32 v[3:4], null, v9, s2, 0
	v_mad_co_u64_u32 v[11:12], null, v10, v8, 0
	;; [unrolled: 1-line block ×3, first 2 shown]
	s_delay_alu instid0(VALU_DEP_3) | instskip(SKIP_1) | instid1(VALU_DEP_4)
	v_add_co_u32 v3, vcc_lo, v15, v3
	s_wait_alu 0xfffd
	v_add_co_ci_u32_e32 v4, vcc_lo, 0, v4, vcc_lo
	s_delay_alu instid0(VALU_DEP_2) | instskip(SKIP_1) | instid1(VALU_DEP_2)
	v_add_co_u32 v3, vcc_lo, v3, v11
	s_wait_alu 0xfffd
	v_add_co_ci_u32_e32 v3, vcc_lo, v4, v12, vcc_lo
	s_wait_alu 0xfffd
	v_add_co_ci_u32_e32 v4, vcc_lo, 0, v14, vcc_lo
	s_delay_alu instid0(VALU_DEP_2) | instskip(SKIP_1) | instid1(VALU_DEP_2)
	v_add_co_u32 v8, vcc_lo, v3, v13
	s_wait_alu 0xfffd
	v_add_co_ci_u32_e32 v11, vcc_lo, 0, v4, vcc_lo
	s_delay_alu instid0(VALU_DEP_2) | instskip(SKIP_1) | instid1(VALU_DEP_3)
	v_mul_lo_u32 v12, s29, v8
	v_mad_co_u64_u32 v[3:4], null, s28, v8, 0
	v_mul_lo_u32 v13, s28, v11
	s_delay_alu instid0(VALU_DEP_2) | instskip(NEXT) | instid1(VALU_DEP_2)
	v_sub_co_u32 v3, vcc_lo, v9, v3
	v_add3_u32 v4, v4, v13, v12
	s_delay_alu instid0(VALU_DEP_1) | instskip(SKIP_1) | instid1(VALU_DEP_1)
	v_sub_nc_u32_e32 v12, v10, v4
	s_wait_alu 0xfffd
	v_subrev_co_ci_u32_e64 v12, s2, s29, v12, vcc_lo
	v_add_co_u32 v13, s2, v8, 2
	s_wait_alu 0xf1ff
	v_add_co_ci_u32_e64 v14, s2, 0, v11, s2
	v_sub_co_u32 v15, s2, v3, s28
	v_sub_co_ci_u32_e32 v4, vcc_lo, v10, v4, vcc_lo
	s_wait_alu 0xf1ff
	v_subrev_co_ci_u32_e64 v12, s2, 0, v12, s2
	s_delay_alu instid0(VALU_DEP_3) | instskip(NEXT) | instid1(VALU_DEP_3)
	v_cmp_le_u32_e32 vcc_lo, s28, v15
	v_cmp_eq_u32_e64 s2, s29, v4
	s_wait_alu 0xfffd
	v_cndmask_b32_e64 v15, 0, -1, vcc_lo
	v_cmp_le_u32_e32 vcc_lo, s29, v12
	s_wait_alu 0xfffd
	v_cndmask_b32_e64 v16, 0, -1, vcc_lo
	v_cmp_le_u32_e32 vcc_lo, s28, v3
	;; [unrolled: 3-line block ×3, first 2 shown]
	s_wait_alu 0xfffd
	v_cndmask_b32_e64 v17, 0, -1, vcc_lo
	v_cmp_eq_u32_e32 vcc_lo, s29, v12
	s_wait_alu 0xf1ff
	s_delay_alu instid0(VALU_DEP_2)
	v_cndmask_b32_e64 v3, v17, v3, s2
	s_wait_alu 0xfffd
	v_cndmask_b32_e32 v12, v16, v15, vcc_lo
	v_add_co_u32 v15, vcc_lo, v8, 1
	s_wait_alu 0xfffd
	v_add_co_ci_u32_e32 v16, vcc_lo, 0, v11, vcc_lo
	s_delay_alu instid0(VALU_DEP_3) | instskip(SKIP_1) | instid1(VALU_DEP_2)
	v_cmp_ne_u32_e32 vcc_lo, 0, v12
	s_wait_alu 0xfffd
	v_cndmask_b32_e32 v4, v16, v14, vcc_lo
	v_cndmask_b32_e32 v12, v15, v13, vcc_lo
	v_cmp_ne_u32_e32 vcc_lo, 0, v3
	s_wait_alu 0xfffd
	s_delay_alu instid0(VALU_DEP_3) | instskip(NEXT) | instid1(VALU_DEP_3)
	v_cndmask_b32_e32 v4, v11, v4, vcc_lo
	v_cndmask_b32_e32 v3, v8, v12, vcc_lo
.LBB0_4:                                ;   in Loop: Header=BB0_2 Depth=1
	s_wait_alu 0xfffe
	s_and_not1_saveexec_b32 s2, s30
	s_cbranch_execz .LBB0_6
; %bb.5:                                ;   in Loop: Header=BB0_2 Depth=1
	v_cvt_f32_u32_e32 v3, s28
	s_sub_co_i32 s30, 0, s28
	s_delay_alu instid0(VALU_DEP_1) | instskip(NEXT) | instid1(TRANS32_DEP_1)
	v_rcp_iflag_f32_e32 v3, v3
	v_mul_f32_e32 v3, 0x4f7ffffe, v3
	s_delay_alu instid0(VALU_DEP_1) | instskip(SKIP_1) | instid1(VALU_DEP_1)
	v_cvt_u32_f32_e32 v3, v3
	s_wait_alu 0xfffe
	v_mul_lo_u32 v4, s30, v3
	s_delay_alu instid0(VALU_DEP_1) | instskip(NEXT) | instid1(VALU_DEP_1)
	v_mul_hi_u32 v4, v3, v4
	v_add_nc_u32_e32 v3, v3, v4
	s_delay_alu instid0(VALU_DEP_1) | instskip(NEXT) | instid1(VALU_DEP_1)
	v_mul_hi_u32 v3, v9, v3
	v_mul_lo_u32 v4, v3, s28
	v_add_nc_u32_e32 v8, 1, v3
	s_delay_alu instid0(VALU_DEP_2) | instskip(NEXT) | instid1(VALU_DEP_1)
	v_sub_nc_u32_e32 v4, v9, v4
	v_subrev_nc_u32_e32 v11, s28, v4
	v_cmp_le_u32_e32 vcc_lo, s28, v4
	s_wait_alu 0xfffd
	s_delay_alu instid0(VALU_DEP_2) | instskip(NEXT) | instid1(VALU_DEP_1)
	v_dual_cndmask_b32 v4, v4, v11 :: v_dual_cndmask_b32 v3, v3, v8
	v_cmp_le_u32_e32 vcc_lo, s28, v4
	s_delay_alu instid0(VALU_DEP_2) | instskip(SKIP_2) | instid1(VALU_DEP_2)
	v_add_nc_u32_e32 v8, 1, v3
	v_mov_b32_e32 v4, v7
	s_wait_alu 0xfffd
	v_cndmask_b32_e32 v3, v3, v8, vcc_lo
.LBB0_6:                                ;   in Loop: Header=BB0_2 Depth=1
	s_wait_alu 0xfffe
	s_or_b32 exec_lo, exec_lo, s2
	v_mul_lo_u32 v8, v4, s28
	s_delay_alu instid0(VALU_DEP_2)
	v_mul_lo_u32 v13, v3, s29
	s_load_b64 s[30:31], s[22:23], 0x0
	v_mad_co_u64_u32 v[11:12], null, v3, s28, 0
	s_load_b64 s[28:29], s[20:21], 0x0
	s_add_nc_u64 s[24:25], s[24:25], 1
	s_add_nc_u64 s[20:21], s[20:21], 8
	s_wait_alu 0xfffe
	v_cmp_ge_u64_e64 s2, s[24:25], s[10:11]
	s_add_nc_u64 s[22:23], s[22:23], 8
	s_add_nc_u64 s[26:27], s[26:27], 8
	v_add3_u32 v8, v12, v13, v8
	v_sub_co_u32 v9, vcc_lo, v9, v11
	s_wait_alu 0xfffd
	s_delay_alu instid0(VALU_DEP_2) | instskip(SKIP_2) | instid1(VALU_DEP_1)
	v_sub_co_ci_u32_e32 v8, vcc_lo, v10, v8, vcc_lo
	s_and_b32 vcc_lo, exec_lo, s2
	s_wait_kmcnt 0x0
	v_mul_lo_u32 v10, s30, v8
	v_mul_lo_u32 v11, s31, v9
	v_mad_co_u64_u32 v[5:6], null, s30, v9, v[5:6]
	v_mul_lo_u32 v8, s28, v8
	v_mul_lo_u32 v12, s29, v9
	v_mad_co_u64_u32 v[1:2], null, s28, v9, v[1:2]
	s_delay_alu instid0(VALU_DEP_4) | instskip(NEXT) | instid1(VALU_DEP_2)
	v_add3_u32 v6, v11, v6, v10
	v_add3_u32 v2, v12, v2, v8
	s_wait_alu 0xfffe
	s_cbranch_vccnz .LBB0_9
; %bb.7:                                ;   in Loop: Header=BB0_2 Depth=1
	v_dual_mov_b32 v10, v4 :: v_dual_mov_b32 v9, v3
	s_branch .LBB0_2
.LBB0_8:
	v_dual_mov_b32 v1, v5 :: v_dual_mov_b32 v2, v6
	s_delay_alu instid0(VALU_DEP_2)
	v_dual_mov_b32 v3, v9 :: v_dual_mov_b32 v4, v10
.LBB0_9:
	s_load_b64 s[0:1], s[0:1], 0x28
	v_mul_hi_u32 v7, 0x4a7904b, v0
                                        ; implicit-def: $vgpr17
	s_wait_kmcnt 0x0
	s_delay_alu instid0(VALU_DEP_2) | instskip(SKIP_1) | instid1(VALU_DEP_1)
	v_cmp_gt_u64_e32 vcc_lo, s[0:1], v[3:4]
	v_cmp_le_u64_e64 s0, s[0:1], v[3:4]
	s_and_saveexec_b32 s1, s0
	s_wait_alu 0xfffe
	s_xor_b32 s0, exec_lo, s1
; %bb.10:
	s_delay_alu instid0(VALU_DEP_3) | instskip(NEXT) | instid1(VALU_DEP_1)
	v_mul_u32_u24_e32 v5, 55, v7
                                        ; implicit-def: $vgpr7
	v_sub_nc_u32_e32 v17, v0, v5
                                        ; implicit-def: $vgpr0
                                        ; implicit-def: $vgpr5_vgpr6
; %bb.11:
	s_wait_alu 0xfffe
	s_or_saveexec_b32 s1, s0
	s_lshl_b64 s[2:3], s[10:11], 3
	s_wait_alu 0xfffe
	s_xor_b32 exec_lo, exec_lo, s1
	s_cbranch_execz .LBB0_13
; %bb.12:
	s_add_nc_u64 s[10:11], s[12:13], s[2:3]
	v_mul_u32_u24_e32 v7, 55, v7
	s_load_b64 s[10:11], s[10:11], 0x0
	v_lshlrev_b64_e32 v[5:6], 2, v[5:6]
	s_delay_alu instid0(VALU_DEP_2) | instskip(NEXT) | instid1(VALU_DEP_1)
	v_sub_nc_u32_e32 v17, v0, v7
	v_mad_co_u64_u32 v[7:8], null, s18, v17, 0
	v_add_nc_u32_e32 v20, 55, v17
	v_add_nc_u32_e32 v22, 0x6e, v17
	v_add_nc_u32_e32 v23, 0xa5, v17
	v_add_nc_u32_e32 v24, 0xdc, v17
	v_add_nc_u32_e32 v28, 0x14a, v17
	v_mad_co_u64_u32 v[9:10], null, s18, v20, 0
	v_mov_b32_e32 v0, v8
	v_mad_co_u64_u32 v[11:12], null, s18, v22, 0
	s_wait_kmcnt 0x0
	v_mul_lo_u32 v8, s11, v3
	v_mul_lo_u32 v21, s10, v4
	v_mad_co_u64_u32 v[13:14], null, s10, v3, 0
	v_mad_co_u64_u32 v[15:16], null, s19, v17, v[0:1]
	v_dual_mov_b32 v0, v10 :: v_dual_add_nc_u32 v29, 0x181, v17
	v_mov_b32_e32 v10, v12
	v_mad_co_u64_u32 v[18:19], null, s18, v23, 0
	v_add3_u32 v14, v14, v21, v8
	s_delay_alu instid0(VALU_DEP_4) | instskip(SKIP_2) | instid1(VALU_DEP_4)
	v_mad_co_u64_u32 v[20:21], null, s19, v20, v[0:1]
	v_mov_b32_e32 v8, v15
	v_add_nc_u32_e32 v16, 0x113, v17
	v_lshlrev_b64_e32 v[12:13], 2, v[13:14]
	v_mad_co_u64_u32 v[14:15], null, s19, v22, v[10:11]
	v_mov_b32_e32 v0, v19
	v_mov_b32_e32 v10, v20
	v_lshlrev_b64_e32 v[7:8], 2, v[7:8]
	v_add_co_u32 v15, s0, s4, v12
	s_wait_alu 0xf1ff
	v_add_co_ci_u32_e64 v13, s0, s5, v13, s0
	v_mov_b32_e32 v12, v14
	s_delay_alu instid0(VALU_DEP_3) | instskip(SKIP_1) | instid1(VALU_DEP_3)
	v_add_co_u32 v26, s0, v15, v5
	s_wait_alu 0xf1ff
	v_add_co_ci_u32_e64 v27, s0, v13, v6, s0
	v_lshlrev_b64_e32 v[5:6], 2, v[9:10]
	v_mad_co_u64_u32 v[9:10], null, s18, v24, 0
	v_mad_co_u64_u32 v[13:14], null, s19, v23, v[0:1]
	;; [unrolled: 1-line block ×4, first 2 shown]
	s_delay_alu instid0(VALU_DEP_4) | instskip(SKIP_3) | instid1(VALU_DEP_4)
	v_mov_b32_e32 v0, v10
	v_lshlrev_b64_e32 v[10:11], 2, v[11:12]
	v_mov_b32_e32 v19, v13
	v_add_co_u32 v7, s0, v26, v7
	v_mad_co_u64_u32 v[12:13], null, s19, v24, v[0:1]
	v_mov_b32_e32 v0, v15
	v_mad_co_u64_u32 v[22:23], null, s18, v29, 0
	s_wait_alu 0xf1ff
	v_add_co_ci_u32_e64 v8, s0, v27, v8, s0
	v_add_co_u32 v5, s0, v26, v5
	v_mad_co_u64_u32 v[15:16], null, s19, v16, v[0:1]
	v_mov_b32_e32 v0, v21
	s_wait_alu 0xf1ff
	v_add_co_ci_u32_e64 v6, s0, v27, v6, s0
	v_lshlrev_b64_e32 v[18:19], 2, v[18:19]
	v_add_co_u32 v24, s0, v26, v10
	s_wait_alu 0xf1ff
	v_add_co_ci_u32_e64 v25, s0, v27, v11, s0
	v_mov_b32_e32 v10, v12
	v_mad_co_u64_u32 v[11:12], null, s19, v28, v[0:1]
	v_mov_b32_e32 v0, v23
	v_add_co_u32 v12, s0, v26, v18
	s_wait_alu 0xf1ff
	v_add_co_ci_u32_e64 v13, s0, v27, v19, s0
	s_delay_alu instid0(VALU_DEP_3) | instskip(SKIP_3) | instid1(VALU_DEP_4)
	v_mad_co_u64_u32 v[18:19], null, s19, v29, v[0:1]
	v_lshlrev_b64_e32 v[9:10], 2, v[9:10]
	v_mov_b32_e32 v21, v11
	v_lshlrev_b64_e32 v[14:15], 2, v[14:15]
	v_mov_b32_e32 v23, v18
	s_delay_alu instid0(VALU_DEP_4) | instskip(NEXT) | instid1(VALU_DEP_4)
	v_add_co_u32 v9, s0, v26, v9
	v_lshlrev_b64_e32 v[19:20], 2, v[20:21]
	s_wait_alu 0xf1ff
	v_add_co_ci_u32_e64 v10, s0, v27, v10, s0
	v_add_co_u32 v14, s0, v26, v14
	v_lshlrev_b64_e32 v[21:22], 2, v[22:23]
	s_wait_alu 0xf1ff
	v_add_co_ci_u32_e64 v15, s0, v27, v15, s0
	v_add_co_u32 v18, s0, v26, v19
	s_wait_alu 0xf1ff
	v_add_co_ci_u32_e64 v19, s0, v27, v20, s0
	v_add_co_u32 v20, s0, v26, v21
	s_wait_alu 0xf1ff
	v_add_co_ci_u32_e64 v21, s0, v27, v22, s0
	s_clause 0x7
	global_load_b32 v0, v[7:8], off
	global_load_b32 v5, v[5:6], off
	;; [unrolled: 1-line block ×8, first 2 shown]
	v_lshl_add_u32 v12, v17, 2, 0
	s_delay_alu instid0(VALU_DEP_1)
	v_add_nc_u32_e32 v13, 0x200, v12
	v_add_nc_u32_e32 v14, 0x400, v12
	s_wait_loadcnt 0x6
	ds_store_2addr_b32 v12, v0, v5 offset1:55
	s_wait_loadcnt 0x4
	ds_store_2addr_b32 v12, v6, v7 offset0:110 offset1:165
	s_wait_loadcnt 0x2
	ds_store_2addr_b32 v13, v8, v9 offset0:92 offset1:147
	;; [unrolled: 2-line block ×3, first 2 shown]
.LBB0_13:
	s_or_b32 exec_lo, exec_lo, s1
	v_lshl_add_u32 v0, v17, 2, 0
	global_wb scope:SCOPE_SE
	s_wait_dscnt 0x0
	s_barrier_signal -1
	s_barrier_wait -1
	global_inv scope:SCOPE_SE
	ds_load_2addr_b32 v[7:8], v0 offset1:40
	ds_load_b32 v24, v0 offset:1600
	v_add_nc_u32_e32 v5, 0x400, v0
	v_add_nc_u32_e32 v21, 0x200, v0
	ds_load_2addr_b32 v[15:16], v0 offset0:80 offset1:120
	s_add_nc_u64 s[2:3], s[14:15], s[2:3]
	ds_load_2addr_b32 v[9:10], v5 offset0:64 offset1:104
	ds_load_2addr_b32 v[13:14], v0 offset0:160 offset1:200
	;; [unrolled: 1-line block ×3, first 2 shown]
	s_mov_b32 s1, exec_lo
	global_wb scope:SCOPE_SE
	s_wait_dscnt 0x0
	s_barrier_signal -1
	s_barrier_wait -1
	global_inv scope:SCOPE_SE
	v_lshrrev_b32_e32 v32, 16, v7
	v_pk_add_f16 v22, v8, v24 neg_lo:[0,1] neg_hi:[0,1]
	v_pk_add_f16 v28, v24, v8
	v_pk_add_f16 v23, v15, v10 neg_lo:[0,1] neg_hi:[0,1]
	s_delay_alu instid0(VALU_DEP_3) | instskip(SKIP_1) | instid1(VALU_DEP_4)
	v_lshrrev_b32_e32 v38, 16, v22
	v_pk_add_f16 v25, v16, v9 neg_lo:[0,1] neg_hi:[0,1]
	v_pk_mul_f16 v6, 0x36a6b08e, v28
	v_lshrrev_b32_e32 v33, 16, v28
	v_lshrrev_b32_e32 v43, 16, v23
	v_mul_f16_e32 v47, 0xbb47, v38
	v_mul_f16_e32 v46, 0xbbeb, v22
	v_pk_add_f16 v29, v10, v15
	v_pk_add_f16 v26, v13, v12 neg_lo:[0,1] neg_hi:[0,1]
	v_lshrrev_b32_e32 v42, 16, v25
	v_fmamk_f16 v20, v28, 0x36a6, v47
	v_mul_f16_e32 v49, 0xba0c, v43
	v_pk_add_f16 v30, v9, v16
	v_pk_fma_f16 v44, 0xbbebbb47, v22, v6 op_sel:[0,0,1] op_sel_hi:[1,1,0] neg_lo:[0,1,0] neg_hi:[0,1,0]
	v_pk_fma_f16 v45, 0xbbebbb47, v22, v6 op_sel:[0,0,1] op_sel_hi:[1,1,0]
	v_fma_f16 v6, v33, 0xb08e, -v46
	v_lshrrev_b32_e32 v36, 16, v29
	v_mul_f16_e32 v57, 0x3482, v23
	v_lshrrev_b32_e32 v39, 16, v26
	v_mul_f16_e32 v50, 0x3482, v42
	v_add_f16_e32 v20, v7, v20
	v_fmamk_f16 v31, v29, 0xb93d, v49
	v_pk_add_f16 v27, v12, v13
	v_pk_mul_f16 v18, 0xb93dbbad, v29
	v_pk_mul_f16 v19, 0xbbad36a6, v30
	v_lshrrev_b32_e32 v35, 16, v30
	v_mul_f16_e32 v56, 0x3b47, v25
	v_add_f16_e32 v6, v32, v6
	v_fma_f16 v40, v36, 0xbbad, -v57
	v_mul_f16_e32 v48, 0x3beb, v39
	v_fmamk_f16 v41, v30, 0xbbad, v50
	v_add_f16_e32 v20, v31, v20
	v_pk_mul_f16 v34, 0xb08e3abb, v27
	v_lshrrev_b32_e32 v37, 16, v27
	v_fma_f16 v31, v35, 0x36a6, -v56
	v_add_f16_e32 v6, v40, v6
	v_fmamk_f16 v40, v27, 0xb08e, v48
	v_add_f16_e32 v20, v41, v20
	v_pk_fma_f16 v52, 0x3482ba0c, v23, v18 op_sel:[0,0,1] op_sel_hi:[1,1,0]
	v_pk_fma_f16 v53, 0x3b473482, v25, v19 op_sel:[0,0,1] op_sel_hi:[1,1,0] neg_lo:[0,1,0] neg_hi:[0,1,0]
	v_pk_fma_f16 v54, 0x3b473482, v25, v19 op_sel:[0,0,1] op_sel_hi:[1,1,0]
	v_mul_f16_e32 v60, 0xb853, v26
	v_lshrrev_b32_e32 v19, 16, v45
	v_pk_fma_f16 v51, 0x3482ba0c, v23, v18 op_sel:[0,0,1] op_sel_hi:[1,1,0] neg_lo:[0,1,0] neg_hi:[0,1,0]
	v_add_f16_e32 v6, v31, v6
	v_add_f16_e32 v18, v40, v20
	v_pk_add_f16 v31, v14, v11 neg_lo:[0,1] neg_hi:[0,1]
	v_pk_fma_f16 v55, 0xb8533beb, v26, v34 op_sel:[0,0,1] op_sel_hi:[1,1,0] neg_lo:[0,1,0] neg_hi:[0,1,0]
	v_pk_fma_f16 v58, 0xb8533beb, v26, v34 op_sel:[0,0,1] op_sel_hi:[1,1,0]
	v_fma_f16 v20, v37, 0x3abb, -v60
	v_add_f16_e32 v40, v32, v44
	v_add_f16_e32 v19, v7, v19
	v_lshrrev_b32_e32 v61, 16, v52
	v_pk_add_f16 v34, v11, v14
	v_lshrrev_b32_e32 v41, 16, v31
	v_add_f16_e32 v20, v20, v6
	v_add_f16_e32 v6, v51, v40
	;; [unrolled: 1-line block ×3, first 2 shown]
	v_lshrrev_b32_e32 v61, 16, v54
	v_pk_mul_f16 v62, 0x3abbb93d, v34
	v_mul_f16_e32 v59, 0x3853, v41
	v_add_f16_e32 v6, v53, v6
	v_lshrrev_b32_e32 v40, 16, v34
	v_add_f16_e32 v19, v61, v19
	v_lshrrev_b32_e32 v65, 16, v58
	v_pk_fma_f16 v61, 0xba0c3853, v31, v62 op_sel:[0,0,1] op_sel_hi:[1,1,0]
	v_mul_f16_e32 v63, 0xba0c, v31
	v_fmamk_f16 v64, v34, 0x3abb, v59
	v_pk_fma_f16 v62, 0xba0c3853, v31, v62 op_sel:[0,0,1] op_sel_hi:[1,1,0] neg_lo:[0,1,0] neg_hi:[0,1,0]
	v_add_f16_e32 v6, v55, v6
	v_add_f16_e32 v65, v65, v19
	v_lshrrev_b32_e32 v66, 16, v61
	v_fma_f16 v67, v40, 0xb93d, -v63
	v_add_f16_e32 v18, v64, v18
	v_add_f16_e32 v19, v62, v6
	s_delay_alu instid0(VALU_DEP_4) | instskip(NEXT) | instid1(VALU_DEP_4)
	v_add_f16_e32 v6, v66, v65
	v_add_f16_e32 v20, v67, v20
	v_cmpx_gt_u32_e32 40, v17
	s_cbranch_execz .LBB0_15
; %bb.14:
	v_mul_f16_e32 v64, 0x36a6, v28
	v_mul_f16_e32 v66, 0xb08e, v33
	;; [unrolled: 1-line block ×5, first 2 shown]
	v_sub_f16_e32 v47, v64, v47
	v_add_f16_e32 v46, v46, v66
	v_sub_f16_e32 v49, v68, v49
	v_mul_f16_e32 v71, 0x36a6, v35
	v_mul_f16_e32 v74, 0xb08e, v27
	v_add_f16_e32 v47, v7, v47
	v_add_f16_e32 v46, v32, v46
	;; [unrolled: 1-line block ×3, first 2 shown]
	v_pk_add_f16 v8, v7, v8
	v_mul_f16_e32 v75, 0x3abb, v37
	v_add_f16_e32 v47, v49, v47
	v_sub_f16_e32 v49, v70, v50
	v_mul_f16_e32 v79, 0x3abb, v34
	v_add_f16_e32 v46, v57, v46
	v_add_f16_e32 v56, v56, v71
	v_sub_f16_e32 v48, v74, v48
	v_add_f16_e32 v47, v49, v47
	v_pk_add_f16 v8, v8, v15
	v_mul_f16_e32 v67, 0xb93d, v33
	v_mul_f16_e32 v76, 0xba0c, v38
	;; [unrolled: 1-line block ×3, first 2 shown]
	v_add_f16_e32 v46, v56, v46
	v_add_f16_e32 v56, v60, v75
	v_bfi_b32 v44, 0xffff, v45, v44
	v_bfi_b32 v45, 0xffff, v52, v51
	v_mul_f16_e32 v51, 0xb853, v22
	v_add_f16_e32 v47, v48, v47
	v_sub_f16_e32 v48, v79, v59
	v_mul_f16_e32 v38, 0xb853, v38
	v_pk_add_f16 v8, v8, v16
	v_fmamk_f16 v72, v22, 0x3a0c, v67
	v_mul_f16_e32 v81, 0x3beb, v43
	v_fmac_f16_e32 v67, 0xba0c, v22
	v_add_f16_e32 v46, v56, v46
	v_add_f16_e32 v56, v63, v87
	v_bfi_b32 v50, 0xffff, v54, v53
	v_fmamk_f16 v53, v33, 0x3abb, v51
	v_mul_f16_e32 v54, 0xbb47, v23
	v_add_f16_e32 v47, v48, v47
	v_fma_f16 v48, v28, 0x3abb, -v38
	v_mul_f16_e32 v43, 0xbb47, v43
	v_fma_f16 v33, v33, 0x3abb, -v51
	v_fmac_f16_e32 v38, 0x3abb, v28
	v_pk_add_f16 v8, v8, v13
	v_add_f16_e32 v72, v32, v72
	v_mul_f16_e32 v84, 0xb853, v42
	v_add_f16_e32 v67, v32, v67
	v_add_f16_e32 v46, v56, v46
	v_add_f16_e32 v53, v32, v53
	v_mul_f16_e32 v56, 0xbbeb, v25
	v_add_f16_e32 v48, v7, v48
	v_fma_f16 v59, v29, 0x36a6, -v43
	v_mul_f16_e32 v42, 0xbbeb, v42
	v_add_f16_e32 v16, v32, v33
	v_fma_f16 v32, v36, 0x36a6, -v54
	v_add_f16_e32 v33, v7, v38
	v_fmac_f16_e32 v43, 0x36a6, v29
	v_pk_add_f16 v8, v8, v14
	v_mul_f16_e32 v86, 0xb482, v39
	v_bfi_b32 v49, 0xffff, v58, v55
	v_mul_f16_e32 v58, 0xba0c, v26
	v_add_f16_e32 v48, v59, v48
	v_fma_f16 v59, v30, 0xb08e, -v42
	v_mul_f16_e32 v39, 0xba0c, v39
	v_add_f16_e32 v16, v32, v16
	v_fma_f16 v32, v35, 0xb08e, -v56
	v_add_f16_e32 v14, v43, v33
	v_fmac_f16_e32 v42, 0xb08e, v30
	v_pk_add_f16 v8, v8, v11
	v_bfi_b32 v52, 0xffff, v61, v62
	v_mul_f16_e32 v61, 0xb482, v31
	v_fma_f16 v15, v27, 0xb93d, -v39
	v_mul_f16_e32 v13, 0xb482, v41
	v_add_f16_e32 v16, v32, v16
	v_fma_f16 v11, v37, 0xb93d, -v58
	v_add_f16_e32 v14, v42, v14
	v_fmac_f16_e32 v39, 0xb93d, v27
	v_pk_add_f16 v8, v8, v12
	v_mul_f16_e32 v73, 0xb08e, v36
	v_fma_f16 v33, v34, 0xbbad, -v13
	v_add_f16_e32 v11, v11, v16
	v_fma_f16 v12, v40, 0xbbad, -v61
	v_add_f16_e32 v14, v39, v14
	v_fmac_f16_e32 v13, 0xbbad, v34
	v_pk_add_f16 v8, v8, v9
	v_pk_mul_f16 v16, 0xbbad, v28 op_sel_hi:[0,1]
	v_fmamk_f16 v77, v23, 0xbbeb, v73
	v_mul_f16_e32 v78, 0x3abb, v35
	v_fmamk_f16 v80, v28, 0xb93d, v76
	v_alignbit_b32 v65, s0, v7, 16
	v_fmac_f16_e32 v73, 0x3beb, v23
	v_add_f16_e32 v11, v12, v11
	v_add_f16_e32 v12, v13, v14
	v_pk_add_f16 v8, v8, v10
	v_pk_fma_f16 v10, 0xb482, v22, v16 op_sel:[0,0,1] op_sel_hi:[0,1,0] neg_lo:[0,1,0] neg_hi:[0,1,0]
	v_pk_mul_f16 v13, 0x3abb, v29 op_sel_hi:[0,1]
	v_add_f16_e32 v72, v77, v72
	v_fmamk_f16 v77, v25, 0x3853, v78
	v_mul_f16_e32 v82, 0xbbad, v37
	v_add_f16_e32 v80, v7, v80
	v_fmamk_f16 v83, v29, 0xb08e, v81
	v_fma_f16 v76, v28, 0xb93d, -v76
	v_add_f16_e32 v66, v73, v67
	v_fma_f16 v73, v29, 0xb08e, -v81
	v_pk_add_f16 v8, v8, v24
	v_pk_add_f16 v24, v65, v10
	v_pk_fma_f16 v28, 0x3853, v23, v13 op_sel:[0,0,1] op_sel_hi:[0,1,0] neg_lo:[0,1,0] neg_hi:[0,1,0]
	v_pk_mul_f16 v29, 0xb93d, v30 op_sel_hi:[0,1]
	v_pk_fma_f16 v16, 0xb482, v22, v16 op_sel:[0,0,1] op_sel_hi:[0,1,0]
	v_alignbit_b32 v10, s0, v10, 16
	v_fmamk_f16 v55, v36, 0x36a6, v54
	v_pk_add_f16 v9, v7, v44 op_sel:[1,0] op_sel_hi:[0,1]
	v_add_f16_e32 v72, v77, v72
	v_fmamk_f16 v77, v26, 0x3482, v82
	v_mul_f16_e32 v85, 0x36a6, v40
	v_add_f16_e32 v80, v83, v80
	v_fmamk_f16 v83, v30, 0x3abb, v84
	v_add_f16_e32 v67, v7, v76
	v_pk_add_f16 v22, v28, v24
	v_pk_fma_f16 v24, 0xba0c, v25, v29 op_sel:[0,0,1] op_sel_hi:[0,1,0] neg_lo:[0,1,0] neg_hi:[0,1,0]
	v_pk_add_f16 v16, v7, v16 op_sel:[1,0] op_sel_hi:[0,1]
	v_pk_fma_f16 v13, 0x3853, v23, v13 op_sel:[0,0,1] op_sel_hi:[0,1,0]
	v_pk_add_f16 v7, v7, v10
	v_alignbit_b32 v10, s0, v28, 16
	v_pk_mul_f16 v23, 0x36a6, v27 op_sel_hi:[0,1]
	v_add_f16_e32 v53, v55, v53
	v_fmamk_f16 v55, v35, 0xb08e, v56
	v_pk_add_f16 v9, v45, v9
	v_add_f16_e32 v72, v77, v72
	v_fmamk_f16 v77, v31, 0xbb47, v85
	v_add_f16_e32 v80, v83, v80
	v_fmamk_f16 v83, v27, 0xbbad, v86
	v_fmac_f16_e32 v78, 0xb853, v25
	v_add_f16_e32 v67, v73, v67
	v_fma_f16 v69, v30, 0x3abb, -v84
	v_pk_add_f16 v22, v24, v22
	v_pk_add_f16 v13, v13, v16
	v_pk_fma_f16 v16, 0xba0c, v25, v29 op_sel:[0,0,1] op_sel_hi:[0,1,0]
	v_pk_add_f16 v7, v10, v7
	v_alignbit_b32 v10, s0, v24, 16
	v_pk_fma_f16 v24, 0x3b47, v26, v23 op_sel:[0,0,1] op_sel_hi:[0,1,0] neg_lo:[0,1,0] neg_hi:[0,1,0]
	v_pk_mul_f16 v25, 0xb08e, v34 op_sel_hi:[0,1]
	v_add_f16_e32 v53, v55, v53
	v_fmamk_f16 v55, v37, 0xb93d, v58
	v_add_f16_e32 v48, v59, v48
	v_pk_add_f16 v9, v50, v9
	v_add_f16_e32 v72, v77, v72
	v_add_f16_e32 v77, v83, v80
	v_mul_f16_e32 v80, 0x3b47, v41
	v_add_f16_e32 v66, v78, v66
	v_fmac_f16_e32 v82, 0xb482, v26
	v_add_f16_e32 v67, v69, v67
	v_fma_f16 v69, v27, 0xbbad, -v86
	v_pk_add_f16 v13, v16, v13
	v_pk_fma_f16 v16, 0x3b47, v26, v23 op_sel:[0,0,1] op_sel_hi:[0,1,0]
	v_pk_add_f16 v7, v10, v7
	v_alignbit_b32 v10, s0, v24, 16
	v_pk_fma_f16 v23, 0xbbeb, v31, v25 op_sel:[0,0,1] op_sel_hi:[0,1,0] neg_lo:[0,1,0] neg_hi:[0,1,0]
	v_add_f16_e32 v53, v55, v53
	v_fmamk_f16 v55, v40, 0xbbad, v61
	v_add_f16_e32 v15, v15, v48
	v_pk_add_f16 v9, v49, v9
	v_add_f16_e32 v66, v82, v66
	v_fmac_f16_e32 v85, 0x3b47, v31
	v_add_f16_e32 v60, v69, v67
	v_fma_f16 v64, v34, 0x36a6, -v80
	v_pk_add_f16 v22, v24, v22
	v_pk_add_f16 v13, v16, v13
	v_pk_fma_f16 v16, 0xbbeb, v31, v25 op_sel:[0,0,1] op_sel_hi:[0,1,0]
	v_pk_add_f16 v7, v10, v7
	v_alignbit_b32 v10, s0, v23, 16
	v_fmamk_f16 v57, v34, 0x36a6, v80
	v_add_f16_e32 v51, v55, v53
	v_add_f16_e32 v15, v33, v15
	v_pk_add_f16 v9, v52, v9
	v_add_f16_e32 v63, v85, v66
	v_add_f16_e32 v60, v64, v60
	v_pk_add_f16 v22, v23, v22
	v_pk_add_f16 v13, v16, v13
	v_pk_add_f16 v7, v10, v7
	v_add_f16_e32 v57, v57, v77
	v_mad_u32_u24 v14, v17, 40, v0
	v_pack_b32_f16 v15, v15, v51
	v_alignbit_b32 v10, v46, v9, 16
	v_pack_b32_f16 v9, v47, v9
	v_pack_b32_f16 v16, v60, v63
	v_alignbit_b32 v22, v22, v13, 16
	v_pack_b32_f16 v7, v7, v13
	v_pack_b32_f16 v13, v57, v72
	v_perm_b32 v23, v20, v6, 0x5040100
	v_pack_b32_f16 v11, v12, v11
	v_perm_b32 v12, v19, v18, 0x5040100
	ds_store_2addr_b32 v14, v8, v15 offset1:1
	ds_store_2addr_b32 v14, v9, v10 offset0:2 offset1:3
	ds_store_b32 v14, v16 offset:16
	ds_store_2addr_b32 v14, v7, v22 offset0:5 offset1:6
	ds_store_2addr_b32 v14, v13, v23 offset0:7 offset1:8
	;; [unrolled: 1-line block ×3, first 2 shown]
.LBB0_15:
	s_wait_alu 0xfffe
	s_or_b32 exec_lo, exec_lo, s1
	v_and_b32_e32 v7, 0xff, v17
	s_load_b64 s[2:3], s[2:3], 0x0
	global_wb scope:SCOPE_SE
	s_wait_dscnt 0x0
	s_wait_kmcnt 0x0
	s_barrier_signal -1
	s_barrier_wait -1
	v_mul_lo_u16 v7, 0x75, v7
	global_inv scope:SCOPE_SE
	v_cmp_gt_u32_e64 s0, 33, v17
	v_lshrrev_b16 v7, 8, v7
	s_delay_alu instid0(VALU_DEP_1) | instskip(NEXT) | instid1(VALU_DEP_1)
	v_sub_nc_u16 v8, v17, v7
	v_lshrrev_b16 v8, 1, v8
	s_delay_alu instid0(VALU_DEP_1) | instskip(NEXT) | instid1(VALU_DEP_1)
	v_and_b32_e32 v8, 0x7f, v8
	v_add_nc_u16 v7, v8, v7
	s_delay_alu instid0(VALU_DEP_1) | instskip(NEXT) | instid1(VALU_DEP_1)
	v_lshrrev_b16 v16, 3, v7
	v_mul_lo_u16 v7, v16, 11
	s_delay_alu instid0(VALU_DEP_1) | instskip(NEXT) | instid1(VALU_DEP_1)
	v_sub_nc_u16 v7, v17, v7
	v_and_b32_e32 v28, 0xff, v7
	s_delay_alu instid0(VALU_DEP_1) | instskip(SKIP_1) | instid1(VALU_DEP_2)
	v_mul_u32_u24_e32 v7, 7, v28
	v_lshlrev_b32_e32 v28, 2, v28
	v_lshlrev_b32_e32 v11, 2, v7
	s_clause 0x1
	global_load_b128 v[7:10], v11, s[8:9]
	global_load_b96 v[11:13], v11, s[8:9] offset:16
	ds_load_2addr_b32 v[14:15], v5 offset0:74 offset1:129
	ds_load_2addr_b32 v[22:23], v0 offset1:55
	ds_load_2addr_b32 v[24:25], v0 offset0:110 offset1:165
	ds_load_2addr_b32 v[26:27], v21 offset0:92 offset1:147
	v_and_b32_e32 v5, 0xffff, v16
	global_wb scope:SCOPE_SE
	s_wait_loadcnt_dscnt 0x0
	s_barrier_signal -1
	s_barrier_wait -1
	global_inv scope:SCOPE_SE
	v_mul_u32_u24_e32 v5, 0x160, v5
	s_delay_alu instid0(VALU_DEP_1)
	v_add3_u32 v28, 0, v5, v28
	v_lshrrev_b32_e32 v16, 16, v15
	v_lshrrev_b32_e32 v29, 16, v23
	;; [unrolled: 1-line block ×15, first 2 shown]
	v_mul_f16_e32 v42, v5, v29
	v_mul_f16_e32 v5, v5, v23
	;; [unrolled: 1-line block ×14, first 2 shown]
	v_fma_f16 v23, v7, v23, -v42
	v_fmac_f16_e32 v5, v7, v29
	v_fma_f16 v7, v8, v24, -v43
	v_fmac_f16_e32 v36, v8, v30
	;; [unrolled: 2-line block ×7, first 2 shown]
	v_sub_f16_e32 v9, v22, v9
	v_sub_f16_e32 v13, v35, v38
	;; [unrolled: 1-line block ×8, first 2 shown]
	v_fma_f16 v22, v22, 2.0, -v9
	v_fma_f16 v24, v35, 2.0, -v13
	;; [unrolled: 1-line block ×8, first 2 shown]
	v_sub_f16_e32 v14, v9, v14
	v_add_f16_e32 v11, v13, v11
	v_sub_f16_e32 v27, v10, v16
	v_add_f16_e32 v12, v15, v12
	v_sub_f16_e32 v29, v22, v7
	v_sub_f16_e32 v25, v24, v25
	v_fma_f16 v9, v9, 2.0, -v14
	v_fma_f16 v13, v13, 2.0, -v11
	v_sub_f16_e32 v30, v23, v5
	v_sub_f16_e32 v8, v26, v8
	v_fma_f16 v10, v10, 2.0, -v27
	v_fma_f16 v31, v15, 2.0, -v12
	v_fmamk_f16 v5, v27, 0x39a8, v14
	v_fmamk_f16 v16, v12, 0x39a8, v11
	v_fma_f16 v32, v22, 2.0, -v29
	v_fma_f16 v24, v24, 2.0, -v25
	;; [unrolled: 1-line block ×4, first 2 shown]
	v_fmamk_f16 v7, v10, 0xb9a8, v9
	v_fmamk_f16 v15, v31, 0xb9a8, v13
	v_sub_f16_e32 v8, v29, v8
	v_add_f16_e32 v22, v25, v30
	v_fmac_f16_e32 v5, 0xb9a8, v12
	v_fmac_f16_e32 v16, 0x39a8, v27
	v_sub_f16_e32 v12, v32, v23
	v_sub_f16_e32 v23, v24, v26
	v_fmac_f16_e32 v7, 0xb9a8, v31
	v_fmac_f16_e32 v15, 0x39a8, v10
	v_fma_f16 v10, v29, 2.0, -v8
	v_fma_f16 v25, v25, 2.0, -v22
	v_fma_f16 v14, v14, 2.0, -v5
	v_fma_f16 v11, v11, 2.0, -v16
	v_fma_f16 v29, v32, 2.0, -v12
	v_fma_f16 v24, v24, 2.0, -v23
	v_fma_f16 v9, v9, 2.0, -v7
	v_fma_f16 v13, v13, 2.0, -v15
	v_pack_b32_f16 v26, v8, v22
	v_pack_b32_f16 v27, v5, v16
	;; [unrolled: 1-line block ×8, first 2 shown]
	ds_store_2addr_b32 v28, v26, v27 offset0:66 offset1:77
	ds_store_2addr_b32 v28, v10, v11 offset0:22 offset1:33
	;; [unrolled: 1-line block ×3, first 2 shown]
	ds_store_2addr_b32 v28, v23, v9 offset1:11
	global_wb scope:SCOPE_SE
	s_wait_dscnt 0x0
	s_barrier_signal -1
	s_barrier_wait -1
	global_inv scope:SCOPE_SE
	ds_load_2addr_b32 v[9:10], v0 offset1:88
	ds_load_2addr_b32 v[13:14], v21 offset0:48 offset1:136
	ds_load_b32 v23, v0 offset:1408
	s_and_saveexec_b32 s1, s0
	s_cbranch_execz .LBB0_17
; %bb.16:
	v_add_nc_u32_e32 v5, 0x200, v0
	ds_load_2addr_b32 v[7:8], v0 offset0:55 offset1:143
	ds_load_b32 v18, v0 offset:1628
	ds_load_2addr_b32 v[5:6], v5 offset0:103 offset1:191
	s_wait_dscnt 0x2
	v_lshrrev_b32_e32 v15, 16, v7
	s_wait_dscnt 0x1
	v_lshrrev_b32_e32 v19, 16, v18
	v_lshrrev_b32_e32 v22, 16, v8
	s_wait_dscnt 0x0
	v_lshrrev_b32_e32 v16, 16, v5
	v_lshrrev_b32_e32 v20, 16, v6
.LBB0_17:
	s_wait_alu 0xfffe
	s_or_b32 exec_lo, exec_lo, s1
	v_dual_mov_b32 v12, 0 :: v_dual_lshlrev_b32 v11, 2, v17
	s_wait_dscnt 0x0
	v_lshrrev_b32_e32 v28, 16, v23
	v_lshrrev_b32_e32 v29, 16, v14
	;; [unrolled: 1-line block ×4, first 2 shown]
	v_lshlrev_b64_e32 v[24:25], 2, v[11:12]
	v_lshrrev_b32_e32 v11, 16, v9
	v_add_nc_u32_e32 v21, 0x200, v0
	s_delay_alu instid0(VALU_DEP_3) | instskip(SKIP_1) | instid1(VALU_DEP_4)
	v_add_co_u32 v24, s1, s8, v24
	s_wait_alu 0xf1ff
	v_add_co_ci_u32_e64 v25, s1, s9, v25, s1
	global_load_b128 v[24:27], v[24:25], off offset:308
	global_wb scope:SCOPE_SE
	s_wait_loadcnt 0x0
	s_barrier_signal -1
	s_barrier_wait -1
	global_inv scope:SCOPE_SE
	v_lshrrev_b32_e32 v32, 16, v24
	v_lshrrev_b32_e32 v33, 16, v25
	;; [unrolled: 1-line block ×4, first 2 shown]
	s_delay_alu instid0(VALU_DEP_4)
	v_mul_f16_e32 v36, v32, v31
	v_mul_f16_e32 v32, v32, v10
	;; [unrolled: 1-line block ×8, first 2 shown]
	v_fma_f16 v10, v24, v10, -v36
	v_fmac_f16_e32 v32, v24, v31
	v_fma_f16 v13, v25, v13, -v37
	v_fmac_f16_e32 v33, v25, v30
	v_fma_f16 v14, v26, v14, -v38
	v_fmac_f16_e32 v34, v26, v29
	v_fma_f16 v23, v27, v23, -v39
	v_fmac_f16_e32 v35, v27, v28
	v_add_f16_e32 v24, v9, v10
	v_add_f16_e32 v25, v13, v14
	v_sub_f16_e32 v28, v10, v13
	v_sub_f16_e32 v29, v23, v14
	v_add_f16_e32 v30, v10, v23
	v_add_f16_e32 v37, v11, v32
	;; [unrolled: 1-line block ×4, first 2 shown]
	v_sub_f16_e32 v26, v32, v35
	v_sub_f16_e32 v31, v13, v10
	;; [unrolled: 1-line block ×4, first 2 shown]
	v_add_f16_e32 v13, v24, v13
	v_fma_f16 v24, -0.5, v25, v9
	v_add_f16_e32 v25, v28, v29
	v_fmac_f16_e32 v9, -0.5, v30
	v_add_f16_e32 v29, v37, v33
	v_fma_f16 v30, -0.5, v38, v11
	v_sub_f16_e32 v27, v33, v34
	v_sub_f16_e32 v36, v14, v23
	v_fmac_f16_e32 v11, -0.5, v42
	v_sub_f16_e32 v40, v32, v33
	v_sub_f16_e32 v41, v35, v34
	;; [unrolled: 1-line block ×3, first 2 shown]
	v_add_f16_e32 v13, v13, v14
	v_fmamk_f16 v14, v26, 0x3b9c, v24
	v_add_f16_e32 v29, v29, v34
	v_fmamk_f16 v34, v10, 0xbb9c, v30
	v_sub_f16_e32 v32, v33, v32
	v_add_f16_e32 v28, v31, v36
	v_fmamk_f16 v33, v27, 0xbb9c, v9
	v_fmac_f16_e32 v9, 0x3b9c, v27
	v_fmamk_f16 v36, v39, 0x3b9c, v11
	v_fmac_f16_e32 v11, 0xbb9c, v39
	v_fmac_f16_e32 v24, 0xbb9c, v26
	v_fmac_f16_e32 v30, 0x3b9c, v10
	v_add_f16_e32 v31, v40, v41
	v_fmac_f16_e32 v14, 0x38b4, v27
	v_fmac_f16_e32 v34, 0xb8b4, v39
	v_add_f16_e32 v32, v32, v43
	v_fmac_f16_e32 v33, 0x38b4, v26
	v_fmac_f16_e32 v9, 0xb8b4, v26
	;; [unrolled: 1-line block ×6, first 2 shown]
	v_add_f16_e32 v13, v13, v23
	v_add_f16_e32 v23, v29, v35
	v_fmac_f16_e32 v14, 0x34f2, v25
	v_fmac_f16_e32 v34, 0x34f2, v31
	;; [unrolled: 1-line block ×8, first 2 shown]
	v_pack_b32_f16 v10, v13, v23
	v_pack_b32_f16 v13, v14, v34
	;; [unrolled: 1-line block ×5, first 2 shown]
	ds_store_2addr_b32 v0, v10, v13 offset1:88
	ds_store_2addr_b32 v21, v14, v9 offset0:48 offset1:136
	ds_store_b32 v0, v11 offset:1408
	s_and_saveexec_b32 s1, s0
	s_cbranch_execz .LBB0_19
; %bb.18:
	v_cndmask_b32_e64 v9, 0xffffffdf, 55, s0
	s_delay_alu instid0(VALU_DEP_1) | instskip(NEXT) | instid1(VALU_DEP_1)
	v_add_lshl_u32 v11, v17, v9, 2
	v_lshlrev_b64_e32 v[9:10], 2, v[11:12]
	s_delay_alu instid0(VALU_DEP_1) | instskip(SKIP_1) | instid1(VALU_DEP_2)
	v_add_co_u32 v9, s0, s8, v9
	s_wait_alu 0xf1ff
	v_add_co_ci_u32_e64 v10, s0, s9, v10, s0
	global_load_b128 v[9:12], v[9:10], off offset:308
	s_wait_loadcnt 0x0
	v_lshrrev_b32_e32 v13, 16, v10
	v_lshrrev_b32_e32 v14, 16, v9
	;; [unrolled: 1-line block ×4, first 2 shown]
	s_delay_alu instid0(VALU_DEP_4) | instskip(NEXT) | instid1(VALU_DEP_4)
	v_mul_f16_e32 v25, v5, v13
	v_mul_f16_e32 v26, v8, v14
	s_delay_alu instid0(VALU_DEP_4) | instskip(NEXT) | instid1(VALU_DEP_4)
	v_mul_f16_e32 v27, v6, v23
	v_mul_f16_e32 v28, v18, v24
	;; [unrolled: 1-line block ×6, first 2 shown]
	v_fmac_f16_e32 v25, v16, v10
	v_fmac_f16_e32 v26, v22, v9
	;; [unrolled: 1-line block ×4, first 2 shown]
	v_fma_f16 v5, v5, v10, -v13
	v_fma_f16 v6, v6, v11, -v23
	;; [unrolled: 1-line block ×4, first 2 shown]
	v_sub_f16_e32 v10, v25, v26
	v_sub_f16_e32 v11, v27, v28
	v_add_f16_e32 v13, v26, v28
	v_sub_f16_e32 v16, v5, v8
	v_sub_f16_e32 v18, v6, v9
	v_add_f16_e32 v20, v8, v9
	v_add_f16_e32 v29, v25, v27
	v_add_f16_e32 v32, v5, v6
	v_sub_f16_e32 v14, v8, v9
	v_sub_f16_e32 v19, v26, v28
	;; [unrolled: 1-line block ×5, first 2 shown]
	v_add_f16_e32 v26, v15, v26
	v_add_f16_e32 v8, v7, v8
	v_add_f16_e32 v10, v10, v11
	v_fma_f16 v11, -0.5, v13, v15
	v_add_f16_e32 v13, v16, v18
	v_fma_f16 v16, -0.5, v20, v7
	v_fma_f16 v15, -0.5, v29, v15
	;; [unrolled: 1-line block ×3, first 2 shown]
	v_sub_f16_e32 v12, v5, v6
	v_sub_f16_e32 v22, v25, v27
	;; [unrolled: 1-line block ×3, first 2 shown]
	v_add_f16_e32 v18, v23, v24
	v_add_f16_e32 v23, v26, v25
	;; [unrolled: 1-line block ×3, first 2 shown]
	v_fmamk_f16 v25, v14, 0xbb9c, v15
	v_fmamk_f16 v26, v19, 0x3b9c, v7
	v_fmamk_f16 v8, v12, 0x3b9c, v11
	v_fmamk_f16 v24, v22, 0xbb9c, v16
	v_fmac_f16_e32 v11, 0xbb9c, v12
	v_fmac_f16_e32 v16, 0x3b9c, v22
	;; [unrolled: 1-line block ×4, first 2 shown]
	v_add_f16_e32 v20, v30, v31
	v_add_f16_e32 v23, v23, v27
	;; [unrolled: 1-line block ×3, first 2 shown]
	v_fmac_f16_e32 v25, 0xb8b4, v12
	v_fmac_f16_e32 v26, 0x38b4, v22
	;; [unrolled: 1-line block ×8, first 2 shown]
	v_add_f16_e32 v6, v23, v28
	v_add_f16_e32 v5, v5, v9
	v_fmac_f16_e32 v25, 0x34f2, v18
	v_fmac_f16_e32 v26, 0x34f2, v20
	;; [unrolled: 1-line block ×8, first 2 shown]
	v_pack_b32_f16 v5, v5, v6
	v_pack_b32_f16 v6, v26, v25
	;; [unrolled: 1-line block ×5, first 2 shown]
	ds_store_2addr_b32 v0, v5, v6 offset0:55 offset1:143
	ds_store_2addr_b32 v21, v8, v9 offset0:103 offset1:191
	ds_store_b32 v0, v7 offset:1628
.LBB0_19:
	s_wait_alu 0xfffe
	s_or_b32 exec_lo, exec_lo, s1
	global_wb scope:SCOPE_SE
	s_wait_dscnt 0x0
	s_barrier_signal -1
	s_barrier_wait -1
	global_inv scope:SCOPE_SE
	s_and_saveexec_b32 s0, vcc_lo
	s_cbranch_execz .LBB0_21
; %bb.20:
	v_mul_lo_u32 v9, s3, v3
	v_mad_co_u64_u32 v[5:6], null, s16, v17, 0
	v_mul_lo_u32 v10, s2, v4
	v_mad_co_u64_u32 v[3:4], null, s2, v3, 0
	v_add_nc_u32_e32 v14, 55, v17
	v_lshl_add_u32 v20, v17, 2, 0
	v_dual_mov_b32 v0, v6 :: v_dual_add_nc_u32 v15, 0x6e, v17
	v_add_nc_u32_e32 v23, 0x113, v17
	s_delay_alu instid0(VALU_DEP_4) | instskip(SKIP_1) | instid1(VALU_DEP_4)
	v_mad_co_u64_u32 v[7:8], null, s16, v14, 0
	v_add3_u32 v4, v4, v10, v9
	v_mad_co_u64_u32 v[9:10], null, s17, v17, v[0:1]
	v_lshlrev_b64_e32 v[0:1], 2, v[1:2]
	v_mad_co_u64_u32 v[12:13], null, s16, v15, 0
	s_delay_alu instid0(VALU_DEP_4)
	v_lshlrev_b64_e32 v[2:3], 2, v[3:4]
	v_mov_b32_e32 v4, v8
	ds_load_2addr_b32 v[10:11], v20 offset1:55
	v_mov_b32_e32 v6, v9
	v_mad_co_u64_u32 v[18:19], null, s16, v23, 0
	v_add_co_u32 v8, vcc_lo, s6, v2
	s_wait_alu 0xfffd
	v_add_co_ci_u32_e32 v9, vcc_lo, s7, v3, vcc_lo
	s_delay_alu instid0(VALU_DEP_2) | instskip(SKIP_2) | instid1(VALU_DEP_3)
	v_add_co_u32 v21, vcc_lo, v8, v0
	v_mov_b32_e32 v0, v13
	s_wait_alu 0xfffd
	v_add_co_ci_u32_e32 v22, vcc_lo, v9, v1, vcc_lo
	v_add_nc_u32_e32 v9, 0xa5, v17
	s_delay_alu instid0(VALU_DEP_3) | instskip(NEXT) | instid1(VALU_DEP_1)
	v_mad_co_u64_u32 v[0:1], null, s17, v15, v[0:1]
	v_mov_b32_e32 v13, v0
	v_mad_co_u64_u32 v[2:3], null, s17, v14, v[4:5]
	s_delay_alu instid0(VALU_DEP_2) | instskip(NEXT) | instid1(VALU_DEP_2)
	v_lshlrev_b64_e32 v[12:13], 2, v[12:13]
	v_mov_b32_e32 v8, v2
	v_mad_co_u64_u32 v[1:2], null, s16, v9, 0
	s_delay_alu instid0(VALU_DEP_1) | instskip(NEXT) | instid1(VALU_DEP_1)
	v_mov_b32_e32 v0, v2
	v_mad_co_u64_u32 v[14:15], null, s17, v9, v[0:1]
	v_add_nc_u32_e32 v9, 0xdc, v17
	v_lshlrev_b64_e32 v[3:4], 2, v[5:6]
	v_lshlrev_b64_e32 v[5:6], 2, v[7:8]
	ds_load_2addr_b32 v[7:8], v20 offset0:110 offset1:165
	v_mad_co_u64_u32 v[15:16], null, s16, v9, 0
	v_add_co_u32 v3, vcc_lo, v21, v3
	v_mov_b32_e32 v2, v14
	s_wait_alu 0xfffd
	v_add_co_ci_u32_e32 v4, vcc_lo, v22, v4, vcc_lo
	v_add_co_u32 v5, vcc_lo, v21, v5
	s_wait_alu 0xfffd
	v_add_co_ci_u32_e32 v6, vcc_lo, v22, v6, vcc_lo
	v_lshlrev_b64_e32 v[1:2], 2, v[1:2]
	v_add_co_u32 v12, vcc_lo, v21, v12
	v_mov_b32_e32 v0, v16
	s_wait_alu 0xfffd
	v_add_co_ci_u32_e32 v13, vcc_lo, v22, v13, vcc_lo
	s_wait_dscnt 0x1
	s_clause 0x1
	global_store_b32 v[3:4], v10, off
	global_store_b32 v[5:6], v11, off
	s_wait_dscnt 0x0
	global_store_b32 v[12:13], v7, off
	v_mad_co_u64_u32 v[4:5], null, s17, v9, v[0:1]
	v_dual_mov_b32 v3, v19 :: v_dual_add_nc_u32 v10, 0x14a, v17
	v_add_nc_u32_e32 v17, 0x181, v17
	v_add_co_u32 v0, vcc_lo, v21, v1
	s_wait_alu 0xfffd
	v_add_co_ci_u32_e32 v1, vcc_lo, v22, v2, vcc_lo
	v_mad_co_u64_u32 v[5:6], null, s17, v23, v[3:4]
	v_mad_co_u64_u32 v[6:7], null, s16, v10, 0
	;; [unrolled: 1-line block ×3, first 2 shown]
	v_dual_mov_b32 v16, v4 :: v_dual_add_nc_u32 v9, 0x200, v20
	s_delay_alu instid0(VALU_DEP_4) | instskip(NEXT) | instid1(VALU_DEP_4)
	v_mov_b32_e32 v19, v5
	v_mad_co_u64_u32 v[4:5], null, s17, v10, v[7:8]
	v_add_nc_u32_e32 v5, 0x400, v20
	s_delay_alu instid0(VALU_DEP_4)
	v_lshlrev_b64_e32 v[11:12], 2, v[15:16]
	ds_load_2addr_b32 v[9:10], v9 offset0:92 offset1:147
	v_lshlrev_b64_e32 v[13:14], 2, v[18:19]
	v_mad_co_u64_u32 v[15:16], null, s17, v17, v[3:4]
	v_mov_b32_e32 v7, v4
	ds_load_2addr_b32 v[4:5], v5 offset0:74 offset1:129
	v_add_co_u32 v11, vcc_lo, v21, v11
	s_wait_alu 0xfffd
	v_add_co_ci_u32_e32 v12, vcc_lo, v22, v12, vcc_lo
	v_mov_b32_e32 v3, v15
	v_lshlrev_b64_e32 v[6:7], 2, v[6:7]
	v_add_co_u32 v13, vcc_lo, v21, v13
	s_wait_alu 0xfffd
	v_add_co_ci_u32_e32 v14, vcc_lo, v22, v14, vcc_lo
	v_lshlrev_b64_e32 v[2:3], 2, v[2:3]
	s_delay_alu instid0(VALU_DEP_4) | instskip(SKIP_2) | instid1(VALU_DEP_3)
	v_add_co_u32 v6, vcc_lo, v21, v6
	s_wait_alu 0xfffd
	v_add_co_ci_u32_e32 v7, vcc_lo, v22, v7, vcc_lo
	v_add_co_u32 v2, vcc_lo, v21, v2
	s_wait_alu 0xfffd
	v_add_co_ci_u32_e32 v3, vcc_lo, v22, v3, vcc_lo
	global_store_b32 v[0:1], v8, off
	s_wait_dscnt 0x1
	s_clause 0x1
	global_store_b32 v[11:12], v9, off
	global_store_b32 v[13:14], v10, off
	s_wait_dscnt 0x0
	s_clause 0x1
	global_store_b32 v[6:7], v4, off
	global_store_b32 v[2:3], v5, off
.LBB0_21:
	s_nop 0
	s_sendmsg sendmsg(MSG_DEALLOC_VGPRS)
	s_endpgm
	.section	.rodata,"a",@progbits
	.p2align	6, 0x0
	.amdhsa_kernel fft_rtc_fwd_len440_factors_11_8_5_wgs_55_tpt_55_half_op_CI_CI_sbrr_dirReg
		.amdhsa_group_segment_fixed_size 0
		.amdhsa_private_segment_fixed_size 0
		.amdhsa_kernarg_size 104
		.amdhsa_user_sgpr_count 2
		.amdhsa_user_sgpr_dispatch_ptr 0
		.amdhsa_user_sgpr_queue_ptr 0
		.amdhsa_user_sgpr_kernarg_segment_ptr 1
		.amdhsa_user_sgpr_dispatch_id 0
		.amdhsa_user_sgpr_private_segment_size 0
		.amdhsa_wavefront_size32 1
		.amdhsa_uses_dynamic_stack 0
		.amdhsa_enable_private_segment 0
		.amdhsa_system_sgpr_workgroup_id_x 1
		.amdhsa_system_sgpr_workgroup_id_y 0
		.amdhsa_system_sgpr_workgroup_id_z 0
		.amdhsa_system_sgpr_workgroup_info 0
		.amdhsa_system_vgpr_workitem_id 0
		.amdhsa_next_free_vgpr 88
		.amdhsa_next_free_sgpr 43
		.amdhsa_reserve_vcc 1
		.amdhsa_float_round_mode_32 0
		.amdhsa_float_round_mode_16_64 0
		.amdhsa_float_denorm_mode_32 3
		.amdhsa_float_denorm_mode_16_64 3
		.amdhsa_fp16_overflow 0
		.amdhsa_workgroup_processor_mode 1
		.amdhsa_memory_ordered 1
		.amdhsa_forward_progress 0
		.amdhsa_round_robin_scheduling 0
		.amdhsa_exception_fp_ieee_invalid_op 0
		.amdhsa_exception_fp_denorm_src 0
		.amdhsa_exception_fp_ieee_div_zero 0
		.amdhsa_exception_fp_ieee_overflow 0
		.amdhsa_exception_fp_ieee_underflow 0
		.amdhsa_exception_fp_ieee_inexact 0
		.amdhsa_exception_int_div_zero 0
	.end_amdhsa_kernel
	.text
.Lfunc_end0:
	.size	fft_rtc_fwd_len440_factors_11_8_5_wgs_55_tpt_55_half_op_CI_CI_sbrr_dirReg, .Lfunc_end0-fft_rtc_fwd_len440_factors_11_8_5_wgs_55_tpt_55_half_op_CI_CI_sbrr_dirReg
                                        ; -- End function
	.section	.AMDGPU.csdata,"",@progbits
; Kernel info:
; codeLenInByte = 7380
; NumSgprs: 45
; NumVgprs: 88
; ScratchSize: 0
; MemoryBound: 0
; FloatMode: 240
; IeeeMode: 1
; LDSByteSize: 0 bytes/workgroup (compile time only)
; SGPRBlocks: 5
; VGPRBlocks: 10
; NumSGPRsForWavesPerEU: 45
; NumVGPRsForWavesPerEU: 88
; Occupancy: 16
; WaveLimiterHint : 1
; COMPUTE_PGM_RSRC2:SCRATCH_EN: 0
; COMPUTE_PGM_RSRC2:USER_SGPR: 2
; COMPUTE_PGM_RSRC2:TRAP_HANDLER: 0
; COMPUTE_PGM_RSRC2:TGID_X_EN: 1
; COMPUTE_PGM_RSRC2:TGID_Y_EN: 0
; COMPUTE_PGM_RSRC2:TGID_Z_EN: 0
; COMPUTE_PGM_RSRC2:TIDIG_COMP_CNT: 0
	.text
	.p2alignl 7, 3214868480
	.fill 96, 4, 3214868480
	.type	__hip_cuid_8209d8bde487a17d,@object ; @__hip_cuid_8209d8bde487a17d
	.section	.bss,"aw",@nobits
	.globl	__hip_cuid_8209d8bde487a17d
__hip_cuid_8209d8bde487a17d:
	.byte	0                               ; 0x0
	.size	__hip_cuid_8209d8bde487a17d, 1

	.ident	"AMD clang version 19.0.0git (https://github.com/RadeonOpenCompute/llvm-project roc-6.4.0 25133 c7fe45cf4b819c5991fe208aaa96edf142730f1d)"
	.section	".note.GNU-stack","",@progbits
	.addrsig
	.addrsig_sym __hip_cuid_8209d8bde487a17d
	.amdgpu_metadata
---
amdhsa.kernels:
  - .args:
      - .actual_access:  read_only
        .address_space:  global
        .offset:         0
        .size:           8
        .value_kind:     global_buffer
      - .offset:         8
        .size:           8
        .value_kind:     by_value
      - .actual_access:  read_only
        .address_space:  global
        .offset:         16
        .size:           8
        .value_kind:     global_buffer
      - .actual_access:  read_only
        .address_space:  global
        .offset:         24
        .size:           8
        .value_kind:     global_buffer
      - .actual_access:  read_only
        .address_space:  global
        .offset:         32
        .size:           8
        .value_kind:     global_buffer
      - .offset:         40
        .size:           8
        .value_kind:     by_value
      - .actual_access:  read_only
        .address_space:  global
        .offset:         48
        .size:           8
        .value_kind:     global_buffer
      - .actual_access:  read_only
        .address_space:  global
        .offset:         56
        .size:           8
        .value_kind:     global_buffer
      - .offset:         64
        .size:           4
        .value_kind:     by_value
      - .actual_access:  read_only
        .address_space:  global
        .offset:         72
        .size:           8
        .value_kind:     global_buffer
      - .actual_access:  read_only
        .address_space:  global
        .offset:         80
        .size:           8
        .value_kind:     global_buffer
      - .actual_access:  read_only
        .address_space:  global
        .offset:         88
        .size:           8
        .value_kind:     global_buffer
      - .actual_access:  write_only
        .address_space:  global
        .offset:         96
        .size:           8
        .value_kind:     global_buffer
    .group_segment_fixed_size: 0
    .kernarg_segment_align: 8
    .kernarg_segment_size: 104
    .language:       OpenCL C
    .language_version:
      - 2
      - 0
    .max_flat_workgroup_size: 55
    .name:           fft_rtc_fwd_len440_factors_11_8_5_wgs_55_tpt_55_half_op_CI_CI_sbrr_dirReg
    .private_segment_fixed_size: 0
    .sgpr_count:     45
    .sgpr_spill_count: 0
    .symbol:         fft_rtc_fwd_len440_factors_11_8_5_wgs_55_tpt_55_half_op_CI_CI_sbrr_dirReg.kd
    .uniform_work_group_size: 1
    .uses_dynamic_stack: false
    .vgpr_count:     88
    .vgpr_spill_count: 0
    .wavefront_size: 32
    .workgroup_processor_mode: 1
amdhsa.target:   amdgcn-amd-amdhsa--gfx1201
amdhsa.version:
  - 1
  - 2
...

	.end_amdgpu_metadata
